;; amdgpu-corpus repo=zjin-lcf/HeCBench kind=compiled arch=gfx906 opt=O3
	.amdgcn_target "amdgcn-amd-amdhsa--gfx906"
	.amdhsa_code_object_version 6
	.text
	.protected	_Z15init_rand_statejPj  ; -- Begin function _Z15init_rand_statejPj
	.globl	_Z15init_rand_statejPj
	.p2align	8
	.type	_Z15init_rand_statejPj,@function
_Z15init_rand_statejPj:                 ; @_Z15init_rand_statejPj
; %bb.0:
	s_load_dword s2, s[4:5], 0x1c
	s_load_dword s3, s[4:5], 0x0
	s_load_dwordx2 s[0:1], s[4:5], 0x8
	s_waitcnt lgkmcnt(0)
	s_and_b32 s2, s2, 0xffff
	s_mul_i32 s6, s6, s2
	v_add_u32_e32 v0, s6, v0
	v_xor_b32_e32 v2, s3, v0
	v_mov_b32_e32 v4, s1
	s_mov_b32 s1, 0x1984a2d
	v_ashrrev_i32_e32 v1, 31, v0
	v_mad_u64_u32 v[2:3], s[2:3], v2, s1, 1
	v_lshlrev_b64 v[0:1], 2, v[0:1]
	v_add_co_u32_e32 v0, vcc, s0, v0
	v_addc_co_u32_e32 v1, vcc, v4, v1, vcc
	v_and_b32_e32 v2, 0x7fffffff, v2
	global_store_dword v[0:1], v2, off
	s_endpgm
	.section	.rodata,"a",@progbits
	.p2align	6, 0x0
	.amdhsa_kernel _Z15init_rand_statejPj
		.amdhsa_group_segment_fixed_size 0
		.amdhsa_private_segment_fixed_size 0
		.amdhsa_kernarg_size 272
		.amdhsa_user_sgpr_count 6
		.amdhsa_user_sgpr_private_segment_buffer 1
		.amdhsa_user_sgpr_dispatch_ptr 0
		.amdhsa_user_sgpr_queue_ptr 0
		.amdhsa_user_sgpr_kernarg_segment_ptr 1
		.amdhsa_user_sgpr_dispatch_id 0
		.amdhsa_user_sgpr_flat_scratch_init 0
		.amdhsa_user_sgpr_private_segment_size 0
		.amdhsa_uses_dynamic_stack 0
		.amdhsa_system_sgpr_private_segment_wavefront_offset 0
		.amdhsa_system_sgpr_workgroup_id_x 1
		.amdhsa_system_sgpr_workgroup_id_y 0
		.amdhsa_system_sgpr_workgroup_id_z 0
		.amdhsa_system_sgpr_workgroup_info 0
		.amdhsa_system_vgpr_workitem_id 0
		.amdhsa_next_free_vgpr 5
		.amdhsa_next_free_sgpr 7
		.amdhsa_reserve_vcc 1
		.amdhsa_reserve_flat_scratch 0
		.amdhsa_float_round_mode_32 0
		.amdhsa_float_round_mode_16_64 0
		.amdhsa_float_denorm_mode_32 3
		.amdhsa_float_denorm_mode_16_64 3
		.amdhsa_dx10_clamp 1
		.amdhsa_ieee_mode 1
		.amdhsa_fp16_overflow 0
		.amdhsa_exception_fp_ieee_invalid_op 0
		.amdhsa_exception_fp_denorm_src 0
		.amdhsa_exception_fp_ieee_div_zero 0
		.amdhsa_exception_fp_ieee_overflow 0
		.amdhsa_exception_fp_ieee_underflow 0
		.amdhsa_exception_fp_ieee_inexact 0
		.amdhsa_exception_int_div_zero 0
	.end_amdhsa_kernel
	.text
.Lfunc_end0:
	.size	_Z15init_rand_statejPj, .Lfunc_end0-_Z15init_rand_statejPj
                                        ; -- End function
	.set _Z15init_rand_statejPj.num_vgpr, 5
	.set _Z15init_rand_statejPj.num_agpr, 0
	.set _Z15init_rand_statejPj.numbered_sgpr, 7
	.set _Z15init_rand_statejPj.num_named_barrier, 0
	.set _Z15init_rand_statejPj.private_seg_size, 0
	.set _Z15init_rand_statejPj.uses_vcc, 1
	.set _Z15init_rand_statejPj.uses_flat_scratch, 0
	.set _Z15init_rand_statejPj.has_dyn_sized_stack, 0
	.set _Z15init_rand_statejPj.has_recursion, 0
	.set _Z15init_rand_statejPj.has_indirect_call, 0
	.section	.AMDGPU.csdata,"",@progbits
; Kernel info:
; codeLenInByte = 108
; TotalNumSgprs: 11
; NumVgprs: 5
; ScratchSize: 0
; MemoryBound: 0
; FloatMode: 240
; IeeeMode: 1
; LDSByteSize: 0 bytes/workgroup (compile time only)
; SGPRBlocks: 1
; VGPRBlocks: 1
; NumSGPRsForWavesPerEU: 11
; NumVGPRsForWavesPerEU: 5
; Occupancy: 10
; WaveLimiterHint : 0
; COMPUTE_PGM_RSRC2:SCRATCH_EN: 0
; COMPUTE_PGM_RSRC2:USER_SGPR: 6
; COMPUTE_PGM_RSRC2:TRAP_HANDLER: 0
; COMPUTE_PGM_RSRC2:TGID_X_EN: 1
; COMPUTE_PGM_RSRC2:TGID_Y_EN: 0
; COMPUTE_PGM_RSRC2:TGID_Z_EN: 0
; COMPUTE_PGM_RSRC2:TIDIG_COMP_CNT: 0
	.text
	.protected	_Z11random_initPjiP6__halfxxf ; -- Begin function _Z11random_initPjiP6__halfxxf
	.globl	_Z11random_initPjiP6__halfxxf
	.p2align	8
	.type	_Z11random_initPjiP6__halfxxf,@function
_Z11random_initPjiP6__halfxxf:          ; @_Z11random_initPjiP6__halfxxf
; %bb.0:
	s_load_dwordx2 s[2:3], s[4:5], 0x18
	s_waitcnt lgkmcnt(0)
	v_cmp_lt_i64_e64 s[0:1], s[2:3], 1
	s_and_b64 vcc, exec, s[0:1]
	s_cbranch_vccnz .LBB1_5
; %bb.1:
	s_load_dword s10, s[4:5], 0x28
	s_load_dword s0, s[4:5], 0x8
	;; [unrolled: 1-line block ×3, first 2 shown]
	s_mov_b32 s13, 0x1984a2d
	s_waitcnt lgkmcnt(0)
	s_abs_i32 s7, s0
	v_cvt_f32_u32_e32 v1, s7
	s_sub_i32 s0, 0, s7
	s_and_b32 s12, s11, 0xffff
	s_mul_i32 s6, s6, s12
	v_rcp_iflag_f32_e32 v1, v1
	v_add_u32_e32 v4, s6, v0
	v_sub_u32_e32 v0, 0, v4
	v_max_i32_e32 v0, v4, v0
	v_mul_f32_e32 v1, 0x4f7ffffe, v1
	v_cvt_u32_f32_e32 v1, v1
	v_ashrrev_i32_e32 v3, 31, v4
	s_mov_b32 s11, 0
	v_mul_lo_u32 v2, s0, v1
	s_load_dwordx2 s[8:9], s[4:5], 0x10
	s_load_dwordx2 s[0:1], s[4:5], 0x0
	s_load_dword s6, s[4:5], 0x30
	s_mov_b64 s[4:5], 0
	v_mul_hi_u32 v2, v1, v2
	s_waitcnt lgkmcnt(0)
	s_mul_i32 s12, s6, s12
	v_add_u32_e32 v1, v1, v2
	v_mul_hi_u32 v1, v0, v1
	v_mov_b32_e32 v2, s1
	v_mul_lo_u32 v1, v1, s7
	v_sub_u32_e32 v0, v0, v1
	v_subrev_u32_e32 v1, s7, v0
	v_cmp_le_u32_e32 vcc, s7, v0
	v_cndmask_b32_e32 v0, v0, v1, vcc
	v_subrev_u32_e32 v1, s7, v0
	v_cmp_le_u32_e32 vcc, s7, v0
	v_cndmask_b32_e32 v0, v0, v1, vcc
	v_xor_b32_e32 v0, v0, v3
	v_sub_u32_e32 v0, v0, v3
	v_ashrrev_i32_e32 v1, 31, v0
	v_lshlrev_b64 v[0:1], 2, v[0:1]
	v_add_co_u32_e32 v0, vcc, s0, v0
	v_addc_co_u32_e32 v1, vcc, v2, v1, vcc
                                        ; implicit-def: $sgpr0_sgpr1
	s_branch .LBB1_3
.LBB1_2:                                ;   in Loop: Header=BB1_3 Depth=1
	s_or_b64 exec, exec, s[6:7]
	s_and_b64 s[6:7], exec, s[0:1]
	s_or_b64 s[4:5], s[6:7], s[4:5]
	s_andn2_b64 exec, exec, s[4:5]
	s_cbranch_execz .LBB1_5
.LBB1_3:                                ; =>This Inner Loop Header: Depth=1
	v_add_u32_e32 v2, s11, v4
	v_ashrrev_i32_e32 v3, 31, v2
	v_cmp_gt_i64_e32 vcc, s[2:3], v[2:3]
	s_or_b64 s[0:1], s[0:1], exec
	s_and_saveexec_b64 s[6:7], vcc
	s_cbranch_execz .LBB1_2
; %bb.4:                                ;   in Loop: Header=BB1_3 Depth=1
	global_load_dword v5, v[0:1], off
	s_andn2_b64 s[14:15], s[0:1], exec
	s_add_i32 s11, s11, s12
	s_ashr_i32 s16, s11, 31
	v_mov_b32_e32 v7, s16
	v_lshlrev_b64 v[2:3], 1, v[2:3]
	v_mov_b32_e32 v8, s9
	s_waitcnt vmcnt(0)
	v_mad_u64_u32 v[5:6], s[0:1], v5, s13, 1
	v_mov_b32_e32 v6, s11
	v_cmp_le_i64_e32 vcc, s[2:3], v[6:7]
	v_and_b32_e32 v5, 0x7fffffff, v5
	v_cvt_f32_u32_e32 v6, v5
	v_add_co_u32_e64 v2, s[0:1], s8, v2
	v_addc_co_u32_e64 v3, s[0:1], v8, v3, s[0:1]
	s_and_b64 s[0:1], vcc, exec
	global_store_dword v[0:1], v5, off
	v_mul_f32_e32 v5, 0x30000000, v6
	v_fma_mixlo_f16 v5, s10, v5, 0
	s_or_b64 s[0:1], s[14:15], s[0:1]
	global_store_short v[2:3], v5, off
	s_branch .LBB1_2
.LBB1_5:
	s_endpgm
	.section	.rodata,"a",@progbits
	.p2align	6, 0x0
	.amdhsa_kernel _Z11random_initPjiP6__halfxxf
		.amdhsa_group_segment_fixed_size 0
		.amdhsa_private_segment_fixed_size 0
		.amdhsa_kernarg_size 304
		.amdhsa_user_sgpr_count 6
		.amdhsa_user_sgpr_private_segment_buffer 1
		.amdhsa_user_sgpr_dispatch_ptr 0
		.amdhsa_user_sgpr_queue_ptr 0
		.amdhsa_user_sgpr_kernarg_segment_ptr 1
		.amdhsa_user_sgpr_dispatch_id 0
		.amdhsa_user_sgpr_flat_scratch_init 0
		.amdhsa_user_sgpr_private_segment_size 0
		.amdhsa_uses_dynamic_stack 0
		.amdhsa_system_sgpr_private_segment_wavefront_offset 0
		.amdhsa_system_sgpr_workgroup_id_x 1
		.amdhsa_system_sgpr_workgroup_id_y 0
		.amdhsa_system_sgpr_workgroup_id_z 0
		.amdhsa_system_sgpr_workgroup_info 0
		.amdhsa_system_vgpr_workitem_id 0
		.amdhsa_next_free_vgpr 9
		.amdhsa_next_free_sgpr 17
		.amdhsa_reserve_vcc 1
		.amdhsa_reserve_flat_scratch 0
		.amdhsa_float_round_mode_32 0
		.amdhsa_float_round_mode_16_64 0
		.amdhsa_float_denorm_mode_32 3
		.amdhsa_float_denorm_mode_16_64 3
		.amdhsa_dx10_clamp 1
		.amdhsa_ieee_mode 1
		.amdhsa_fp16_overflow 0
		.amdhsa_exception_fp_ieee_invalid_op 0
		.amdhsa_exception_fp_denorm_src 0
		.amdhsa_exception_fp_ieee_div_zero 0
		.amdhsa_exception_fp_ieee_overflow 0
		.amdhsa_exception_fp_ieee_underflow 0
		.amdhsa_exception_fp_ieee_inexact 0
		.amdhsa_exception_int_div_zero 0
	.end_amdhsa_kernel
	.text
.Lfunc_end1:
	.size	_Z11random_initPjiP6__halfxxf, .Lfunc_end1-_Z11random_initPjiP6__halfxxf
                                        ; -- End function
	.set _Z11random_initPjiP6__halfxxf.num_vgpr, 9
	.set _Z11random_initPjiP6__halfxxf.num_agpr, 0
	.set _Z11random_initPjiP6__halfxxf.numbered_sgpr, 17
	.set _Z11random_initPjiP6__halfxxf.num_named_barrier, 0
	.set _Z11random_initPjiP6__halfxxf.private_seg_size, 0
	.set _Z11random_initPjiP6__halfxxf.uses_vcc, 1
	.set _Z11random_initPjiP6__halfxxf.uses_flat_scratch, 0
	.set _Z11random_initPjiP6__halfxxf.has_dyn_sized_stack, 0
	.set _Z11random_initPjiP6__halfxxf.has_recursion, 0
	.set _Z11random_initPjiP6__halfxxf.has_indirect_call, 0
	.section	.AMDGPU.csdata,"",@progbits
; Kernel info:
; codeLenInByte = 436
; TotalNumSgprs: 21
; NumVgprs: 9
; ScratchSize: 0
; MemoryBound: 0
; FloatMode: 240
; IeeeMode: 1
; LDSByteSize: 0 bytes/workgroup (compile time only)
; SGPRBlocks: 2
; VGPRBlocks: 2
; NumSGPRsForWavesPerEU: 21
; NumVGPRsForWavesPerEU: 9
; Occupancy: 10
; WaveLimiterHint : 0
; COMPUTE_PGM_RSRC2:SCRATCH_EN: 0
; COMPUTE_PGM_RSRC2:USER_SGPR: 6
; COMPUTE_PGM_RSRC2:TRAP_HANDLER: 0
; COMPUTE_PGM_RSRC2:TGID_X_EN: 1
; COMPUTE_PGM_RSRC2:TGID_Y_EN: 0
; COMPUTE_PGM_RSRC2:TGID_Z_EN: 0
; COMPUTE_PGM_RSRC2:TIDIG_COMP_CNT: 0
	.text
	.protected	_Z36sgd_k128_kernel_hogwild_warp32_lratePK7mf_nodexP6__halfS3_PjPKfxxiiiiiiffiiii ; -- Begin function _Z36sgd_k128_kernel_hogwild_warp32_lratePK7mf_nodexP6__halfS3_PjPKfxxiiiiiiffiiii
	.globl	_Z36sgd_k128_kernel_hogwild_warp32_lratePK7mf_nodexP6__halfS3_PjPKfxxiiiiiiffiiii
	.p2align	8
	.type	_Z36sgd_k128_kernel_hogwild_warp32_lratePK7mf_nodexP6__halfS3_PjPKfxxiiiiiiffiiii,@function
_Z36sgd_k128_kernel_hogwild_warp32_lratePK7mf_nodexP6__halfS3_PjPKfxxiiiiiiffiiii: ; @_Z36sgd_k128_kernel_hogwild_warp32_lratePK7mf_nodexP6__halfS3_PjPKfxxiiiiiiffiiii
; %bb.0:
	s_load_dwordx4 s[16:19], s[4:5], 0x40
	s_waitcnt lgkmcnt(0)
	s_cmp_lt_i32 s17, 1
	s_cbranch_scc1 .LBB2_19
; %bb.1:
	s_load_dwordx4 s[20:23], s[4:5], 0x50
	s_load_dwordx4 s[24:27], s[4:5], 0x20
	s_load_dwordx8 s[8:15], s[4:5], 0x0
	s_add_i32 s17, s18, s17
	v_and_b32_e32 v3, 31, v0
	s_waitcnt lgkmcnt(0)
	s_cmp_gt_i32 s20, 0
	s_cselect_b64 s[2:3], -1, 0
	s_xor_b32 s5, s10, s11
	s_flbit_i32 s4, s11
	s_ashr_i32 s5, s5, 31
	v_lshrrev_b32_e32 v0, 5, v0
	s_add_i32 s4, s4, -1
	s_add_i32 s5, s5, 32
	v_lshl_add_u32 v0, s6, 2, v0
	s_min_u32 s6, s4, s5
	v_ashrrev_i32_e32 v1, 31, v0
	s_lshl_b64 s[4:5], s[10:11], s6
	v_lshlrev_b64 v[0:1], 2, v[0:1]
	s_min_u32 s4, s4, 1
	s_or_b32 s4, s5, s4
	v_cvt_f32_i32_e32 v6, s4
	v_add_co_u32_e32 v4, vcc, s24, v0
	v_cndmask_b32_e64 v0, 0, 1, s[2:3]
	v_cmp_ne_u32_e64 s[2:3], 1, v0
	v_mbcnt_lo_u32_b32 v0, -1, 0
	s_sub_i32 s4, 32, s6
	v_mbcnt_hi_u32_b32 v10, -1, v0
	v_mov_b32_e32 v2, s25
	s_cmp_gt_i32 s21, 0
	v_lshlrev_b32_e32 v0, 2, v10
	v_cmp_eq_u32_e64 s[0:1], 0, v3
	v_addc_co_u32_e32 v5, vcc, v2, v1, vcc
	v_ldexp_f32 v9, v6, s4
	s_cselect_b64 s[24:25], -1, 0
	s_mov_b32 s33, 0x1984a2d
	s_mov_b32 s38, 0x2f800000
	;; [unrolled: 1-line block ×3, first 2 shown]
	v_mov_b32_e32 v6, 0
	v_and_b32_e32 v11, 0x100, v0
	v_and_b32_e32 v12, 63, v10
	s_ashr_i32 s28, s11, 31
	s_branch .LBB2_3
.LBB2_2:                                ;   in Loop: Header=BB2_3 Depth=1
	s_add_i32 s18, s18, 1
	s_cmp_ge_i32 s18, s17
	s_cbranch_scc1 .LBB2_19
.LBB2_3:                                ; =>This Loop Header: Depth=1
                                        ;     Child Loop BB2_6 Depth 2
                                        ;       Child Loop BB2_15 Depth 3
	s_and_b64 vcc, exec, s[2:3]
	s_cbranch_vccnz .LBB2_2
; %bb.4:                                ;   in Loop: Header=BB2_3 Depth=1
	s_waitcnt lgkmcnt(0)
	s_ashr_i32 s19, s18, 31
	s_lshl_b64 s[4:5], s[18:19], 2
	s_add_u32 s4, s26, s4
	v_cmp_gt_u32_e32 vcc, 48, v12
	s_addc_u32 s5, s27, s5
	v_cndmask_b32_e64 v0, 0, 16, vcc
	v_cmp_gt_u32_e32 vcc, 56, v12
	s_load_dword s19, s[4:5], 0x0
	v_add_lshl_u32 v13, v0, v10, 2
	v_cndmask_b32_e64 v0, 0, 8, vcc
	v_cmp_gt_u32_e32 vcc, 60, v12
	v_add_lshl_u32 v14, v0, v10, 2
	v_cndmask_b32_e64 v0, 0, 4, vcc
	v_cmp_gt_u32_e32 vcc, 62, v12
	v_add_lshl_u32 v15, v0, v10, 2
	v_cndmask_b32_e64 v0, 0, 2, vcc
	v_cmp_ne_u32_e32 vcc, 63, v12
	v_add_lshl_u32 v16, v0, v10, 2
	v_addc_co_u32_e32 v0, vcc, 0, v10, vcc
	s_mov_b32 s40, 0
	v_lshlrev_b32_e32 v17, 2, v0
	s_branch .LBB2_6
.LBB2_5:                                ;   in Loop: Header=BB2_6 Depth=2
	s_add_i32 s40, s40, 1
	s_cmp_eq_u32 s40, s20
	s_cbranch_scc1 .LBB2_2
.LBB2_6:                                ;   Parent Loop BB2_3 Depth=1
                                        ; =>  This Loop Header: Depth=2
                                        ;       Child Loop BB2_15 Depth 3
	v_mov_b32_e32 v0, 0
	v_mov_b32_e32 v1, 0
	s_and_saveexec_b64 s[30:31], s[0:1]
	s_cbranch_execz .LBB2_12
; %bb.7:                                ;   in Loop: Header=BB2_6 Depth=2
	global_load_dword v0, v[4:5], off
	s_waitcnt vmcnt(0)
	v_mad_u64_u32 v[0:1], s[4:5], v0, s33, 1
	v_and_b32_e32 v0, 0x7fffffff, v0
	v_cvt_f32_u32_e32 v1, v0
	global_store_dword v[4:5], v0, off
	v_mul_f32_e32 v1, 0x30000000, v1
	v_mul_f32_e32 v1, v1, v9
	v_trunc_f32_e32 v1, v1
	v_mul_f32_e64 v2, |v1|, s38
	v_floor_f32_e32 v2, v2
	v_fma_f32 v7, v2, s39, |v1|
	v_cvt_u32_f32_e32 v2, v2
	v_cvt_u32_f32_e32 v7, v7
	v_ashrrev_i32_e32 v1, 31, v1
	v_xor_b32_e32 v8, v2, v1
	v_xor_b32_e32 v2, v7, v1
	v_sub_co_u32_e32 v2, vcc, v2, v1
	v_subb_co_u32_e32 v8, vcc, v8, v1, vcc
	v_or_b32_e32 v7, s11, v8
	v_cmp_ne_u64_e32 vcc, 0, v[6:7]
                                        ; implicit-def: $vgpr0_vgpr1
	s_and_saveexec_b64 s[4:5], vcc
	s_xor_b64 s[34:35], exec, s[4:5]
	s_cbranch_execz .LBB2_9
; %bb.8:                                ;   in Loop: Header=BB2_6 Depth=2
	s_add_u32 s4, s10, s28
	s_mov_b32 s29, s28
	s_addc_u32 s5, s11, s28
	s_xor_b64 s[36:37], s[4:5], s[28:29]
	v_cvt_f32_u32_e32 v0, s36
	v_cvt_f32_u32_e32 v1, s37
	s_sub_u32 s6, 0, s36
	s_subb_u32 s7, 0, s37
	s_waitcnt lgkmcnt(0)
	v_ashrrev_i32_e32 v18, 31, v8
	v_mac_f32_e32 v0, 0x4f800000, v1
	v_rcp_f32_e32 v0, v0
	v_mul_f32_e32 v0, 0x5f7ffffc, v0
	v_mul_f32_e32 v1, 0x2f800000, v0
	v_trunc_f32_e32 v1, v1
	v_mac_f32_e32 v0, 0xcf800000, v1
	v_cvt_u32_f32_e32 v1, v1
	v_cvt_u32_f32_e32 v0, v0
	v_readfirstlane_b32 s29, v1
	v_readfirstlane_b32 s4, v0
	s_mul_i32 s5, s6, s29
	s_mul_hi_u32 s42, s6, s4
	s_mul_i32 s41, s7, s4
	s_add_i32 s5, s42, s5
	s_add_i32 s5, s5, s41
	s_mul_i32 s43, s6, s4
	s_mul_i32 s42, s4, s5
	s_mul_hi_u32 s44, s4, s43
	s_mul_hi_u32 s41, s4, s5
	s_add_u32 s42, s44, s42
	s_addc_u32 s41, 0, s41
	s_mul_hi_u32 s45, s29, s43
	s_mul_i32 s43, s29, s43
	s_add_u32 s42, s42, s43
	s_mul_hi_u32 s44, s29, s5
	s_addc_u32 s41, s41, s45
	s_addc_u32 s42, s44, 0
	s_mul_i32 s5, s29, s5
	s_add_u32 s5, s41, s5
	s_addc_u32 s41, 0, s42
	s_add_u32 s42, s4, s5
	s_cselect_b64 s[4:5], -1, 0
	s_cmp_lg_u64 s[4:5], 0
	s_addc_u32 s29, s29, s41
	s_mul_i32 s4, s6, s29
	s_mul_hi_u32 s5, s6, s42
	s_add_i32 s4, s5, s4
	s_mul_i32 s7, s7, s42
	s_add_i32 s4, s4, s7
	s_mul_i32 s6, s6, s42
	s_mul_hi_u32 s7, s29, s6
	s_mul_i32 s41, s29, s6
	s_mul_i32 s44, s42, s4
	s_mul_hi_u32 s6, s42, s6
	s_mul_hi_u32 s43, s42, s4
	s_add_u32 s6, s6, s44
	s_addc_u32 s43, 0, s43
	s_add_u32 s6, s6, s41
	s_mul_hi_u32 s5, s29, s4
	s_addc_u32 s6, s43, s7
	s_addc_u32 s5, s5, 0
	s_mul_i32 s4, s29, s4
	s_add_u32 s4, s6, s4
	s_addc_u32 s6, 0, s5
	s_add_u32 s7, s42, s4
	s_cselect_b64 s[4:5], -1, 0
	s_cmp_lg_u64 s[4:5], 0
	v_add_co_u32_e32 v0, vcc, v2, v18
	s_addc_u32 s6, s29, s6
	v_xor_b32_e32 v19, v0, v18
	v_mad_u64_u32 v[0:1], s[4:5], v19, s6, 0
	v_mul_hi_u32 v7, v19, s7
	v_addc_co_u32_e32 v2, vcc, v8, v18, vcc
	v_xor_b32_e32 v2, v2, v18
	v_add_co_u32_e32 v20, vcc, v7, v0
	v_addc_co_u32_e32 v21, vcc, 0, v1, vcc
	v_mad_u64_u32 v[0:1], s[4:5], v2, s7, 0
	v_mad_u64_u32 v[7:8], s[4:5], v2, s6, 0
	v_add_co_u32_e32 v0, vcc, v20, v0
	v_addc_co_u32_e32 v0, vcc, v21, v1, vcc
	v_addc_co_u32_e32 v1, vcc, 0, v8, vcc
	v_add_co_u32_e32 v0, vcc, v0, v7
	v_addc_co_u32_e32 v1, vcc, 0, v1, vcc
	v_mul_lo_u32 v7, s37, v0
	v_mul_lo_u32 v8, s36, v1
	v_mad_u64_u32 v[0:1], s[4:5], s36, v0, 0
	v_add3_u32 v1, v1, v8, v7
	v_sub_u32_e32 v7, v2, v1
	v_mov_b32_e32 v8, s37
	v_sub_co_u32_e32 v0, vcc, v19, v0
	v_subb_co_u32_e64 v7, s[4:5], v7, v8, vcc
	v_subrev_co_u32_e64 v19, s[4:5], s36, v0
	v_subbrev_co_u32_e64 v20, s[6:7], 0, v7, s[4:5]
	v_cmp_le_u32_e64 s[6:7], s37, v20
	v_cndmask_b32_e64 v21, 0, -1, s[6:7]
	v_cmp_le_u32_e64 s[6:7], s36, v19
	v_subb_co_u32_e64 v7, s[4:5], v7, v8, s[4:5]
	v_cndmask_b32_e64 v22, 0, -1, s[6:7]
	v_cmp_eq_u32_e64 s[6:7], s37, v20
	v_subrev_co_u32_e64 v8, s[4:5], s36, v19
	v_subb_co_u32_e32 v1, vcc, v2, v1, vcc
	v_cndmask_b32_e64 v21, v21, v22, s[6:7]
	v_subbrev_co_u32_e64 v7, s[4:5], 0, v7, s[4:5]
	v_cmp_le_u32_e32 vcc, s37, v1
	v_cmp_ne_u32_e64 s[4:5], 0, v21
	v_cndmask_b32_e64 v2, 0, -1, vcc
	v_cmp_le_u32_e32 vcc, s36, v0
	v_cndmask_b32_e64 v7, v20, v7, s[4:5]
	v_cndmask_b32_e64 v20, 0, -1, vcc
	v_cmp_eq_u32_e32 vcc, s37, v1
	v_cndmask_b32_e32 v2, v2, v20, vcc
	v_cmp_ne_u32_e32 vcc, 0, v2
	v_cndmask_b32_e64 v2, v19, v8, s[4:5]
	v_cndmask_b32_e32 v0, v0, v2, vcc
	v_cndmask_b32_e32 v1, v1, v7, vcc
	v_xor_b32_e32 v0, v0, v18
	v_xor_b32_e32 v1, v1, v18
	v_sub_co_u32_e32 v0, vcc, v0, v18
	v_subb_co_u32_e32 v1, vcc, v1, v18, vcc
                                        ; implicit-def: $vgpr2
.LBB2_9:                                ;   in Loop: Header=BB2_6 Depth=2
	s_andn2_saveexec_b64 s[4:5], s[34:35]
	s_cbranch_execz .LBB2_11
; %bb.10:                               ;   in Loop: Header=BB2_6 Depth=2
	v_cvt_f32_u32_e32 v0, s10
	s_sub_i32 s6, 0, s10
	v_rcp_iflag_f32_e32 v0, v0
	v_mul_f32_e32 v0, 0x4f7ffffe, v0
	v_cvt_u32_f32_e32 v0, v0
	v_mul_lo_u32 v1, s6, v0
	v_mul_hi_u32 v1, v0, v1
	v_add_u32_e32 v0, v0, v1
	v_mul_hi_u32 v0, v2, v0
	v_mul_lo_u32 v0, v0, s10
	v_sub_u32_e32 v0, v2, v0
	v_subrev_u32_e32 v1, s10, v0
	v_cmp_le_u32_e32 vcc, s10, v0
	v_cndmask_b32_e32 v0, v0, v1, vcc
	v_subrev_u32_e32 v1, s10, v0
	v_cmp_le_u32_e32 vcc, s10, v0
	v_cndmask_b32_e32 v0, v0, v1, vcc
	v_mov_b32_e32 v1, v6
.LBB2_11:                               ;   in Loop: Header=BB2_6 Depth=2
	s_or_b64 exec, exec, s[4:5]
.LBB2_12:                               ;   in Loop: Header=BB2_6 Depth=2
	s_or_b64 exec, exec, s[30:31]
	s_waitcnt lgkmcnt(0)
	ds_bpermute_b32 v18, v11, v0
	ds_bpermute_b32 v19, v11, v1
	s_andn2_b64 vcc, exec, s[24:25]
	s_cbranch_vccnz .LBB2_5
; %bb.13:                               ;   in Loop: Header=BB2_6 Depth=2
	s_mov_b32 s34, s21
	s_branch .LBB2_15
.LBB2_14:                               ;   in Loop: Header=BB2_15 Depth=3
	s_or_b64 exec, exec, s[4:5]
	v_mad_i64_i32 v[0:1], s[4:5], v0, 12, s[8:9]
	v_mov_b32_e32 v22, s13
	v_mov_b32_e32 v23, s15
	global_load_dwordx3 v[0:2], v[0:1], off
	s_add_i32 s34, s34, -1
	s_cmp_eq_u32 s34, 0
	s_waitcnt vmcnt(0)
	v_mad_u64_u32 v[7:8], s[4:5], v0, s16, v[3:4]
	v_mad_u64_u32 v[0:1], s[4:5], v1, s16, v[3:4]
	v_ashrrev_i32_e32 v8, 31, v7
	v_lshlrev_b64 v[7:8], 1, v[7:8]
	v_ashrrev_i32_e32 v1, 31, v0
	v_lshlrev_b64 v[20:21], 1, v[0:1]
	v_add_co_u32_e32 v0, vcc, s12, v7
	v_addc_co_u32_e32 v1, vcc, v22, v8, vcc
	v_add_co_u32_e32 v7, vcc, s14, v20
	v_addc_co_u32_e32 v8, vcc, v23, v21, vcc
	global_load_ushort v20, v[7:8], off offset:64
	global_load_ushort v21, v[0:1], off offset:64
	;; [unrolled: 1-line block ×4, first 2 shown]
	global_load_ushort v24, v[0:1], off
	global_load_ushort v25, v[7:8], off offset:128
	global_load_ushort v26, v[7:8], off offset:192
	global_load_ushort v27, v[7:8], off
	v_add_co_u32_e32 v18, vcc, 1, v18
	v_addc_co_u32_e32 v19, vcc, 0, v19, vcc
	s_waitcnt vmcnt(7)
	v_cvt_f32_f16_e32 v29, v20
	s_waitcnt vmcnt(6)
	v_cvt_f32_f16_e32 v28, v21
	;; [unrolled: 2-line block ×5, first 2 shown]
	v_mul_f32_e32 v30, v28, v29
	s_waitcnt vmcnt(2)
	v_cvt_f32_f16_e32 v35, v25
	s_waitcnt vmcnt(0)
	v_fma_mix_f32 v30, v24, v27, v30 op_sel_hi:[1,1,0]
	v_fma_mix_f32 v30, v22, v25, v30 op_sel_hi:[1,1,0]
	;; [unrolled: 1-line block ×3, first 2 shown]
	ds_bpermute_b32 v31, v13, v30
	v_cvt_f32_f16_e32 v33, v27
	v_cvt_f32_f16_e32 v37, v26
	v_mul_f32_e32 v32, s22, v32
	v_mul_f32_e32 v28, s22, v28
	s_waitcnt lgkmcnt(0)
	v_add_f32_e32 v30, v30, v31
	ds_bpermute_b32 v31, v14, v30
	v_mul_f32_e32 v33, s23, v33
	v_mul_f32_e32 v29, s23, v29
	s_waitcnt lgkmcnt(0)
	v_add_f32_e32 v30, v30, v31
	ds_bpermute_b32 v31, v15, v30
	s_waitcnt lgkmcnt(0)
	v_add_f32_e32 v30, v30, v31
	ds_bpermute_b32 v31, v16, v30
	;; [unrolled: 3-line block ×4, first 2 shown]
	v_mul_f32_e32 v31, s22, v34
	v_mul_f32_e32 v34, s23, v35
	;; [unrolled: 1-line block ×4, first 2 shown]
	s_waitcnt lgkmcnt(0)
	v_sub_f32_e32 v2, v2, v30
	v_fma_mix_f32 v30, v2, v27, -v32 op_sel_hi:[0,1,0]
	v_fma_mix_f32 v32, v2, v24, -v33 op_sel_hi:[0,1,0]
	;; [unrolled: 1-line block ×8, first 2 shown]
	v_fma_mixlo_f16 v24, s19, v30, v24 op_sel_hi:[0,0,1]
	v_fma_mixlo_f16 v27, s19, v32, v27 op_sel_hi:[0,0,1]
	;; [unrolled: 1-line block ×8, first 2 shown]
	global_store_short v[0:1], v24, off
	global_store_short v[7:8], v27, off
	global_store_short v[0:1], v21, off offset:64
	global_store_short v[7:8], v20, off offset:64
	;; [unrolled: 1-line block ×6, first 2 shown]
	s_cbranch_scc1 .LBB2_5
.LBB2_15:                               ;   Parent Loop BB2_3 Depth=1
                                        ;     Parent Loop BB2_6 Depth=2
                                        ; =>    This Inner Loop Header: Depth=3
	s_waitcnt lgkmcnt(0)
	v_or_b32_e32 v7, s11, v19
	v_cmp_ne_u64_e32 vcc, 0, v[6:7]
                                        ; implicit-def: $vgpr0_vgpr1
	s_and_saveexec_b64 s[4:5], vcc
	s_xor_b64 s[6:7], exec, s[4:5]
	s_cbranch_execz .LBB2_17
; %bb.16:                               ;   in Loop: Header=BB2_15 Depth=3
	s_add_u32 s4, s10, s28
	s_mov_b32 s29, s28
	s_addc_u32 s5, s11, s28
	s_xor_b64 s[30:31], s[4:5], s[28:29]
	v_cvt_f32_u32_e32 v0, s30
	v_cvt_f32_u32_e32 v1, s31
	s_sub_u32 s29, 0, s30
	s_subb_u32 s35, 0, s31
	v_ashrrev_i32_e32 v2, 31, v19
	v_mac_f32_e32 v0, 0x4f800000, v1
	v_rcp_f32_e32 v0, v0
	v_mul_f32_e32 v0, 0x5f7ffffc, v0
	v_mul_f32_e32 v1, 0x2f800000, v0
	v_trunc_f32_e32 v1, v1
	v_mac_f32_e32 v0, 0xcf800000, v1
	v_cvt_u32_f32_e32 v1, v1
	v_cvt_u32_f32_e32 v0, v0
	v_readfirstlane_b32 s36, v1
	v_readfirstlane_b32 s4, v0
	s_mul_i32 s5, s29, s36
	s_mul_hi_u32 s41, s29, s4
	s_mul_i32 s37, s35, s4
	s_add_i32 s5, s41, s5
	s_add_i32 s5, s5, s37
	s_mul_i32 s42, s29, s4
	s_mul_i32 s41, s4, s5
	s_mul_hi_u32 s43, s4, s42
	s_mul_hi_u32 s37, s4, s5
	s_add_u32 s41, s43, s41
	s_addc_u32 s37, 0, s37
	s_mul_hi_u32 s44, s36, s42
	s_mul_i32 s42, s36, s42
	s_add_u32 s41, s41, s42
	s_mul_hi_u32 s43, s36, s5
	s_addc_u32 s37, s37, s44
	s_addc_u32 s41, s43, 0
	s_mul_i32 s5, s36, s5
	s_add_u32 s5, s37, s5
	s_addc_u32 s37, 0, s41
	s_add_u32 s41, s4, s5
	s_cselect_b64 s[4:5], -1, 0
	s_cmp_lg_u64 s[4:5], 0
	s_addc_u32 s36, s36, s37
	s_mul_i32 s4, s29, s36
	s_mul_hi_u32 s5, s29, s41
	s_add_i32 s4, s5, s4
	s_mul_i32 s35, s35, s41
	s_add_i32 s4, s4, s35
	s_mul_i32 s29, s29, s41
	s_mul_hi_u32 s35, s36, s29
	s_mul_i32 s37, s36, s29
	s_mul_i32 s43, s41, s4
	s_mul_hi_u32 s29, s41, s29
	s_mul_hi_u32 s42, s41, s4
	s_add_u32 s29, s29, s43
	s_addc_u32 s42, 0, s42
	s_add_u32 s29, s29, s37
	s_mul_hi_u32 s5, s36, s4
	s_addc_u32 s29, s42, s35
	s_addc_u32 s5, s5, 0
	s_mul_i32 s4, s36, s4
	s_add_u32 s4, s29, s4
	s_addc_u32 s29, 0, s5
	s_add_u32 s35, s41, s4
	s_cselect_b64 s[4:5], -1, 0
	s_cmp_lg_u64 s[4:5], 0
	v_add_co_u32_e32 v0, vcc, v18, v2
	s_addc_u32 s29, s36, s29
	v_xor_b32_e32 v20, v0, v2
	v_mad_u64_u32 v[0:1], s[4:5], v20, s29, 0
	v_mul_hi_u32 v8, v20, s35
	v_addc_co_u32_e32 v7, vcc, v19, v2, vcc
	v_xor_b32_e32 v21, v7, v2
	v_add_co_u32_e32 v22, vcc, v8, v0
	v_addc_co_u32_e32 v23, vcc, 0, v1, vcc
	v_mad_u64_u32 v[0:1], s[4:5], v21, s35, 0
	v_mad_u64_u32 v[7:8], s[4:5], v21, s29, 0
	v_add_co_u32_e32 v0, vcc, v22, v0
	v_addc_co_u32_e32 v0, vcc, v23, v1, vcc
	v_addc_co_u32_e32 v1, vcc, 0, v8, vcc
	v_add_co_u32_e32 v0, vcc, v0, v7
	v_addc_co_u32_e32 v1, vcc, 0, v1, vcc
	v_mul_lo_u32 v7, s31, v0
	v_mul_lo_u32 v8, s30, v1
	v_mad_u64_u32 v[0:1], s[4:5], s30, v0, 0
	v_add3_u32 v1, v1, v8, v7
	v_sub_u32_e32 v7, v21, v1
	v_mov_b32_e32 v8, s31
	v_sub_co_u32_e32 v0, vcc, v20, v0
	v_subb_co_u32_e64 v7, s[4:5], v7, v8, vcc
	v_subrev_co_u32_e64 v8, s[4:5], s30, v0
	v_subbrev_co_u32_e64 v7, s[4:5], 0, v7, s[4:5]
	v_cmp_le_u32_e64 s[4:5], s31, v7
	v_subb_co_u32_e32 v1, vcc, v21, v1, vcc
	v_cndmask_b32_e64 v20, 0, -1, s[4:5]
	v_cmp_le_u32_e64 s[4:5], s30, v8
	v_cmp_le_u32_e32 vcc, s31, v1
	v_cndmask_b32_e64 v22, 0, -1, s[4:5]
	v_cmp_eq_u32_e64 s[4:5], s31, v7
	v_cndmask_b32_e64 v21, 0, -1, vcc
	v_cmp_le_u32_e32 vcc, s30, v0
	v_cndmask_b32_e64 v7, v20, v22, s[4:5]
	v_cndmask_b32_e64 v22, 0, -1, vcc
	v_cmp_eq_u32_e32 vcc, s31, v1
	v_subrev_co_u32_e64 v20, s[4:5], s30, v8
	v_cndmask_b32_e32 v1, v21, v22, vcc
	v_cmp_ne_u32_e32 vcc, 0, v7
	v_cndmask_b32_e32 v7, v8, v20, vcc
	v_cmp_ne_u32_e32 vcc, 0, v1
	v_cndmask_b32_e32 v0, v0, v7, vcc
	v_xor_b32_e32 v0, v0, v2
	v_sub_co_u32_e32 v0, vcc, v0, v2
.LBB2_17:                               ;   in Loop: Header=BB2_15 Depth=3
	s_andn2_saveexec_b64 s[4:5], s[6:7]
	s_cbranch_execz .LBB2_14
; %bb.18:                               ;   in Loop: Header=BB2_15 Depth=3
	v_cvt_f32_u32_e32 v0, s10
	s_sub_i32 s6, 0, s10
	v_rcp_iflag_f32_e32 v0, v0
	v_mul_f32_e32 v0, 0x4f7ffffe, v0
	v_cvt_u32_f32_e32 v0, v0
	v_mul_lo_u32 v1, s6, v0
	v_mul_hi_u32 v1, v0, v1
	v_add_u32_e32 v0, v0, v1
	v_mul_hi_u32 v0, v18, v0
	v_mul_lo_u32 v0, v0, s10
	v_sub_u32_e32 v0, v18, v0
	v_subrev_u32_e32 v1, s10, v0
	v_cmp_le_u32_e32 vcc, s10, v0
	v_cndmask_b32_e32 v0, v0, v1, vcc
	v_subrev_u32_e32 v1, s10, v0
	v_cmp_le_u32_e32 vcc, s10, v0
	v_cndmask_b32_e32 v0, v0, v1, vcc
	s_branch .LBB2_14
.LBB2_19:
	s_endpgm
	.section	.rodata,"a",@progbits
	.p2align	6, 0x0
	.amdhsa_kernel _Z36sgd_k128_kernel_hogwild_warp32_lratePK7mf_nodexP6__halfS3_PjPKfxxiiiiiiffiiii
		.amdhsa_group_segment_fixed_size 0
		.amdhsa_private_segment_fixed_size 0
		.amdhsa_kernarg_size 112
		.amdhsa_user_sgpr_count 6
		.amdhsa_user_sgpr_private_segment_buffer 1
		.amdhsa_user_sgpr_dispatch_ptr 0
		.amdhsa_user_sgpr_queue_ptr 0
		.amdhsa_user_sgpr_kernarg_segment_ptr 1
		.amdhsa_user_sgpr_dispatch_id 0
		.amdhsa_user_sgpr_flat_scratch_init 0
		.amdhsa_user_sgpr_private_segment_size 0
		.amdhsa_uses_dynamic_stack 0
		.amdhsa_system_sgpr_private_segment_wavefront_offset 0
		.amdhsa_system_sgpr_workgroup_id_x 1
		.amdhsa_system_sgpr_workgroup_id_y 0
		.amdhsa_system_sgpr_workgroup_id_z 0
		.amdhsa_system_sgpr_workgroup_info 0
		.amdhsa_system_vgpr_workitem_id 0
		.amdhsa_next_free_vgpr 38
		.amdhsa_next_free_sgpr 46
		.amdhsa_reserve_vcc 1
		.amdhsa_reserve_flat_scratch 0
		.amdhsa_float_round_mode_32 0
		.amdhsa_float_round_mode_16_64 0
		.amdhsa_float_denorm_mode_32 3
		.amdhsa_float_denorm_mode_16_64 3
		.amdhsa_dx10_clamp 1
		.amdhsa_ieee_mode 1
		.amdhsa_fp16_overflow 0
		.amdhsa_exception_fp_ieee_invalid_op 0
		.amdhsa_exception_fp_denorm_src 0
		.amdhsa_exception_fp_ieee_div_zero 0
		.amdhsa_exception_fp_ieee_overflow 0
		.amdhsa_exception_fp_ieee_underflow 0
		.amdhsa_exception_fp_ieee_inexact 0
		.amdhsa_exception_int_div_zero 0
	.end_amdhsa_kernel
	.text
.Lfunc_end2:
	.size	_Z36sgd_k128_kernel_hogwild_warp32_lratePK7mf_nodexP6__halfS3_PjPKfxxiiiiiiffiiii, .Lfunc_end2-_Z36sgd_k128_kernel_hogwild_warp32_lratePK7mf_nodexP6__halfS3_PjPKfxxiiiiiiffiiii
                                        ; -- End function
	.set _Z36sgd_k128_kernel_hogwild_warp32_lratePK7mf_nodexP6__halfS3_PjPKfxxiiiiiiffiiii.num_vgpr, 38
	.set _Z36sgd_k128_kernel_hogwild_warp32_lratePK7mf_nodexP6__halfS3_PjPKfxxiiiiiiffiiii.num_agpr, 0
	.set _Z36sgd_k128_kernel_hogwild_warp32_lratePK7mf_nodexP6__halfS3_PjPKfxxiiiiiiffiiii.numbered_sgpr, 46
	.set _Z36sgd_k128_kernel_hogwild_warp32_lratePK7mf_nodexP6__halfS3_PjPKfxxiiiiiiffiiii.num_named_barrier, 0
	.set _Z36sgd_k128_kernel_hogwild_warp32_lratePK7mf_nodexP6__halfS3_PjPKfxxiiiiiiffiiii.private_seg_size, 0
	.set _Z36sgd_k128_kernel_hogwild_warp32_lratePK7mf_nodexP6__halfS3_PjPKfxxiiiiiiffiiii.uses_vcc, 1
	.set _Z36sgd_k128_kernel_hogwild_warp32_lratePK7mf_nodexP6__halfS3_PjPKfxxiiiiiiffiiii.uses_flat_scratch, 0
	.set _Z36sgd_k128_kernel_hogwild_warp32_lratePK7mf_nodexP6__halfS3_PjPKfxxiiiiiiffiiii.has_dyn_sized_stack, 0
	.set _Z36sgd_k128_kernel_hogwild_warp32_lratePK7mf_nodexP6__halfS3_PjPKfxxiiiiiiffiiii.has_recursion, 0
	.set _Z36sgd_k128_kernel_hogwild_warp32_lratePK7mf_nodexP6__halfS3_PjPKfxxiiiiiiffiiii.has_indirect_call, 0
	.section	.AMDGPU.csdata,"",@progbits
; Kernel info:
; codeLenInByte = 2540
; TotalNumSgprs: 50
; NumVgprs: 38
; ScratchSize: 0
; MemoryBound: 0
; FloatMode: 240
; IeeeMode: 1
; LDSByteSize: 0 bytes/workgroup (compile time only)
; SGPRBlocks: 6
; VGPRBlocks: 9
; NumSGPRsForWavesPerEU: 50
; NumVGPRsForWavesPerEU: 38
; Occupancy: 6
; WaveLimiterHint : 1
; COMPUTE_PGM_RSRC2:SCRATCH_EN: 0
; COMPUTE_PGM_RSRC2:USER_SGPR: 6
; COMPUTE_PGM_RSRC2:TRAP_HANDLER: 0
; COMPUTE_PGM_RSRC2:TGID_X_EN: 1
; COMPUTE_PGM_RSRC2:TGID_Y_EN: 0
; COMPUTE_PGM_RSRC2:TGID_Z_EN: 0
; COMPUTE_PGM_RSRC2:TIDIG_COMP_CNT: 0
	.text
	.protected	_Z15init_rand_statejPji ; -- Begin function _Z15init_rand_statejPji
	.globl	_Z15init_rand_statejPji
	.p2align	8
	.type	_Z15init_rand_statejPji,@function
_Z15init_rand_statejPji:                ; @_Z15init_rand_statejPji
; %bb.0:
	s_load_dword s0, s[4:5], 0x24
	s_load_dword s1, s[4:5], 0x0
	;; [unrolled: 1-line block ×3, first 2 shown]
	s_waitcnt lgkmcnt(0)
	s_and_b32 s0, s0, 0xffff
	s_mul_i32 s6, s6, s0
	v_add_u32_e32 v0, s6, v0
	v_xor_b32_e32 v2, s1, v0
	v_cmp_gt_i32_e32 vcc, s2, v0
	s_and_saveexec_b64 s[0:1], vcc
; %bb.1:
	s_mov_b32 s2, 0x1984a2d
	v_mad_u64_u32 v[1:2], s[2:3], v2, s2, 1
	v_and_b32_e32 v2, 0x7fffffff, v1
; %bb.2:
	s_or_b64 exec, exec, s[0:1]
	s_load_dwordx2 s[0:1], s[4:5], 0x8
	v_ashrrev_i32_e32 v1, 31, v0
	v_lshlrev_b64 v[0:1], 2, v[0:1]
	s_waitcnt lgkmcnt(0)
	v_mov_b32_e32 v3, s1
	v_add_co_u32_e32 v0, vcc, s0, v0
	v_addc_co_u32_e32 v1, vcc, v3, v1, vcc
	global_store_dword v[0:1], v2, off
	s_endpgm
	.section	.rodata,"a",@progbits
	.p2align	6, 0x0
	.amdhsa_kernel _Z15init_rand_statejPji
		.amdhsa_group_segment_fixed_size 0
		.amdhsa_private_segment_fixed_size 0
		.amdhsa_kernarg_size 280
		.amdhsa_user_sgpr_count 6
		.amdhsa_user_sgpr_private_segment_buffer 1
		.amdhsa_user_sgpr_dispatch_ptr 0
		.amdhsa_user_sgpr_queue_ptr 0
		.amdhsa_user_sgpr_kernarg_segment_ptr 1
		.amdhsa_user_sgpr_dispatch_id 0
		.amdhsa_user_sgpr_flat_scratch_init 0
		.amdhsa_user_sgpr_private_segment_size 0
		.amdhsa_uses_dynamic_stack 0
		.amdhsa_system_sgpr_private_segment_wavefront_offset 0
		.amdhsa_system_sgpr_workgroup_id_x 1
		.amdhsa_system_sgpr_workgroup_id_y 0
		.amdhsa_system_sgpr_workgroup_id_z 0
		.amdhsa_system_sgpr_workgroup_info 0
		.amdhsa_system_vgpr_workitem_id 0
		.amdhsa_next_free_vgpr 4
		.amdhsa_next_free_sgpr 7
		.amdhsa_reserve_vcc 1
		.amdhsa_reserve_flat_scratch 0
		.amdhsa_float_round_mode_32 0
		.amdhsa_float_round_mode_16_64 0
		.amdhsa_float_denorm_mode_32 3
		.amdhsa_float_denorm_mode_16_64 3
		.amdhsa_dx10_clamp 1
		.amdhsa_ieee_mode 1
		.amdhsa_fp16_overflow 0
		.amdhsa_exception_fp_ieee_invalid_op 0
		.amdhsa_exception_fp_denorm_src 0
		.amdhsa_exception_fp_ieee_div_zero 0
		.amdhsa_exception_fp_ieee_overflow 0
		.amdhsa_exception_fp_ieee_underflow 0
		.amdhsa_exception_fp_ieee_inexact 0
		.amdhsa_exception_int_div_zero 0
	.end_amdhsa_kernel
	.text
.Lfunc_end3:
	.size	_Z15init_rand_statejPji, .Lfunc_end3-_Z15init_rand_statejPji
                                        ; -- End function
	.set _Z15init_rand_statejPji.num_vgpr, 4
	.set _Z15init_rand_statejPji.num_agpr, 0
	.set _Z15init_rand_statejPji.numbered_sgpr, 7
	.set _Z15init_rand_statejPji.num_named_barrier, 0
	.set _Z15init_rand_statejPji.private_seg_size, 0
	.set _Z15init_rand_statejPji.uses_vcc, 1
	.set _Z15init_rand_statejPji.uses_flat_scratch, 0
	.set _Z15init_rand_statejPji.has_dyn_sized_stack, 0
	.set _Z15init_rand_statejPji.has_recursion, 0
	.set _Z15init_rand_statejPji.has_indirect_call, 0
	.section	.AMDGPU.csdata,"",@progbits
; Kernel info:
; codeLenInByte = 132
; TotalNumSgprs: 11
; NumVgprs: 4
; ScratchSize: 0
; MemoryBound: 0
; FloatMode: 240
; IeeeMode: 1
; LDSByteSize: 0 bytes/workgroup (compile time only)
; SGPRBlocks: 1
; VGPRBlocks: 0
; NumSGPRsForWavesPerEU: 11
; NumVGPRsForWavesPerEU: 4
; Occupancy: 10
; WaveLimiterHint : 0
; COMPUTE_PGM_RSRC2:SCRATCH_EN: 0
; COMPUTE_PGM_RSRC2:USER_SGPR: 6
; COMPUTE_PGM_RSRC2:TRAP_HANDLER: 0
; COMPUTE_PGM_RSRC2:TGID_X_EN: 1
; COMPUTE_PGM_RSRC2:TGID_Y_EN: 0
; COMPUTE_PGM_RSRC2:TGID_Z_EN: 0
; COMPUTE_PGM_RSRC2:TIDIG_COMP_CNT: 0
	.text
	.protected	_Z14transform_halfPK6__halfPfx ; -- Begin function _Z14transform_halfPK6__halfPfx
	.globl	_Z14transform_halfPK6__halfPfx
	.p2align	8
	.type	_Z14transform_halfPK6__halfPfx,@function
_Z14transform_halfPK6__halfPfx:         ; @_Z14transform_halfPK6__halfPfx
; %bb.0:
	s_load_dword s7, s[4:5], 0x24
	s_load_dwordx2 s[0:1], s[4:5], 0x10
	s_add_u32 s2, s4, 24
	s_addc_u32 s3, s5, 0
	s_waitcnt lgkmcnt(0)
	s_and_b32 s7, s7, 0xffff
	s_mul_i32 s6, s6, s7
	v_add_u32_e32 v0, s6, v0
	v_ashrrev_i32_e32 v1, 31, v0
	v_cmp_gt_i64_e32 vcc, s[0:1], v[0:1]
	s_and_saveexec_b64 s[8:9], vcc
	s_cbranch_execz .LBB4_3
; %bb.1:
	s_load_dword s6, s[2:3], 0x0
	s_load_dwordx4 s[8:11], s[4:5], 0x0
	v_lshlrev_b64 v[2:3], 2, v[0:1]
	s_waitcnt lgkmcnt(0)
	s_mul_i32 s2, s6, s7
	v_mov_b32_e32 v4, s11
	v_add_co_u32_e32 v2, vcc, s10, v2
	v_addc_co_u32_e32 v3, vcc, v4, v3, vcc
	v_lshlrev_b64 v[4:5], 1, v[0:1]
	s_ashr_i32 s3, s2, 31
	s_lshl_b64 s[4:5], s[2:3], 2
	v_mov_b32_e32 v6, s9
	v_add_co_u32_e32 v4, vcc, s8, v4
	s_lshl_b64 s[6:7], s[2:3], 1
	v_addc_co_u32_e32 v5, vcc, v6, v5, vcc
	s_mov_b64 s[8:9], 0
	v_mov_b32_e32 v6, s3
	v_mov_b32_e32 v7, s5
	;; [unrolled: 1-line block ×3, first 2 shown]
.LBB4_2:                                ; =>This Inner Loop Header: Depth=1
	global_load_ushort v9, v[4:5], off
	v_add_co_u32_e32 v0, vcc, s2, v0
	v_addc_co_u32_e32 v1, vcc, v1, v6, vcc
	v_add_co_u32_e32 v4, vcc, s6, v4
	v_addc_co_u32_e32 v5, vcc, v5, v8, vcc
	v_cmp_le_i64_e32 vcc, s[0:1], v[0:1]
	s_or_b64 s[8:9], vcc, s[8:9]
	s_waitcnt vmcnt(0)
	v_cvt_f32_f16_e32 v9, v9
	global_store_dword v[2:3], v9, off
	v_add_co_u32_e32 v2, vcc, s4, v2
	v_addc_co_u32_e32 v3, vcc, v3, v7, vcc
	s_andn2_b64 exec, exec, s[8:9]
	s_cbranch_execnz .LBB4_2
.LBB4_3:
	s_endpgm
	.section	.rodata,"a",@progbits
	.p2align	6, 0x0
	.amdhsa_kernel _Z14transform_halfPK6__halfPfx
		.amdhsa_group_segment_fixed_size 0
		.amdhsa_private_segment_fixed_size 0
		.amdhsa_kernarg_size 280
		.amdhsa_user_sgpr_count 6
		.amdhsa_user_sgpr_private_segment_buffer 1
		.amdhsa_user_sgpr_dispatch_ptr 0
		.amdhsa_user_sgpr_queue_ptr 0
		.amdhsa_user_sgpr_kernarg_segment_ptr 1
		.amdhsa_user_sgpr_dispatch_id 0
		.amdhsa_user_sgpr_flat_scratch_init 0
		.amdhsa_user_sgpr_private_segment_size 0
		.amdhsa_uses_dynamic_stack 0
		.amdhsa_system_sgpr_private_segment_wavefront_offset 0
		.amdhsa_system_sgpr_workgroup_id_x 1
		.amdhsa_system_sgpr_workgroup_id_y 0
		.amdhsa_system_sgpr_workgroup_id_z 0
		.amdhsa_system_sgpr_workgroup_info 0
		.amdhsa_system_vgpr_workitem_id 0
		.amdhsa_next_free_vgpr 10
		.amdhsa_next_free_sgpr 12
		.amdhsa_reserve_vcc 1
		.amdhsa_reserve_flat_scratch 0
		.amdhsa_float_round_mode_32 0
		.amdhsa_float_round_mode_16_64 0
		.amdhsa_float_denorm_mode_32 3
		.amdhsa_float_denorm_mode_16_64 3
		.amdhsa_dx10_clamp 1
		.amdhsa_ieee_mode 1
		.amdhsa_fp16_overflow 0
		.amdhsa_exception_fp_ieee_invalid_op 0
		.amdhsa_exception_fp_denorm_src 0
		.amdhsa_exception_fp_ieee_div_zero 0
		.amdhsa_exception_fp_ieee_overflow 0
		.amdhsa_exception_fp_ieee_underflow 0
		.amdhsa_exception_fp_ieee_inexact 0
		.amdhsa_exception_int_div_zero 0
	.end_amdhsa_kernel
	.text
.Lfunc_end4:
	.size	_Z14transform_halfPK6__halfPfx, .Lfunc_end4-_Z14transform_halfPK6__halfPfx
                                        ; -- End function
	.set _Z14transform_halfPK6__halfPfx.num_vgpr, 10
	.set _Z14transform_halfPK6__halfPfx.num_agpr, 0
	.set _Z14transform_halfPK6__halfPfx.numbered_sgpr, 12
	.set _Z14transform_halfPK6__halfPfx.num_named_barrier, 0
	.set _Z14transform_halfPK6__halfPfx.private_seg_size, 0
	.set _Z14transform_halfPK6__halfPfx.uses_vcc, 1
	.set _Z14transform_halfPK6__halfPfx.uses_flat_scratch, 0
	.set _Z14transform_halfPK6__halfPfx.has_dyn_sized_stack, 0
	.set _Z14transform_halfPK6__halfPfx.has_recursion, 0
	.set _Z14transform_halfPK6__halfPfx.has_indirect_call, 0
	.section	.AMDGPU.csdata,"",@progbits
; Kernel info:
; codeLenInByte = 220
; TotalNumSgprs: 16
; NumVgprs: 10
; ScratchSize: 0
; MemoryBound: 0
; FloatMode: 240
; IeeeMode: 1
; LDSByteSize: 0 bytes/workgroup (compile time only)
; SGPRBlocks: 1
; VGPRBlocks: 2
; NumSGPRsForWavesPerEU: 16
; NumVGPRsForWavesPerEU: 10
; Occupancy: 10
; WaveLimiterHint : 0
; COMPUTE_PGM_RSRC2:SCRATCH_EN: 0
; COMPUTE_PGM_RSRC2:USER_SGPR: 6
; COMPUTE_PGM_RSRC2:TRAP_HANDLER: 0
; COMPUTE_PGM_RSRC2:TGID_X_EN: 1
; COMPUTE_PGM_RSRC2:TGID_Y_EN: 0
; COMPUTE_PGM_RSRC2:TGID_Z_EN: 0
; COMPUTE_PGM_RSRC2:TIDIG_COMP_CNT: 0
	.section	.AMDGPU.gpr_maximums,"",@progbits
	.set amdgpu.max_num_vgpr, 0
	.set amdgpu.max_num_agpr, 0
	.set amdgpu.max_num_sgpr, 0
	.section	.AMDGPU.csdata,"",@progbits
	.type	__hip_cuid_553d931bd8dbe8d5,@object ; @__hip_cuid_553d931bd8dbe8d5
	.section	.bss,"aw",@nobits
	.globl	__hip_cuid_553d931bd8dbe8d5
__hip_cuid_553d931bd8dbe8d5:
	.byte	0                               ; 0x0
	.size	__hip_cuid_553d931bd8dbe8d5, 1

	.ident	"AMD clang version 22.0.0git (https://github.com/RadeonOpenCompute/llvm-project roc-7.2.4 26084 f58b06dce1f9c15707c5f808fd002e18c2accf7e)"
	.section	".note.GNU-stack","",@progbits
	.addrsig
	.addrsig_sym __hip_cuid_553d931bd8dbe8d5
	.amdgpu_metadata
---
amdhsa.kernels:
  - .args:
      - .offset:         0
        .size:           4
        .value_kind:     by_value
      - .address_space:  global
        .offset:         8
        .size:           8
        .value_kind:     global_buffer
      - .offset:         16
        .size:           4
        .value_kind:     hidden_block_count_x
      - .offset:         20
        .size:           4
        .value_kind:     hidden_block_count_y
      - .offset:         24
        .size:           4
        .value_kind:     hidden_block_count_z
      - .offset:         28
        .size:           2
        .value_kind:     hidden_group_size_x
      - .offset:         30
        .size:           2
        .value_kind:     hidden_group_size_y
      - .offset:         32
        .size:           2
        .value_kind:     hidden_group_size_z
      - .offset:         34
        .size:           2
        .value_kind:     hidden_remainder_x
      - .offset:         36
        .size:           2
        .value_kind:     hidden_remainder_y
      - .offset:         38
        .size:           2
        .value_kind:     hidden_remainder_z
      - .offset:         56
        .size:           8
        .value_kind:     hidden_global_offset_x
      - .offset:         64
        .size:           8
        .value_kind:     hidden_global_offset_y
      - .offset:         72
        .size:           8
        .value_kind:     hidden_global_offset_z
      - .offset:         80
        .size:           2
        .value_kind:     hidden_grid_dims
    .group_segment_fixed_size: 0
    .kernarg_segment_align: 8
    .kernarg_segment_size: 272
    .language:       OpenCL C
    .language_version:
      - 2
      - 0
    .max_flat_workgroup_size: 1024
    .name:           _Z15init_rand_statejPj
    .private_segment_fixed_size: 0
    .sgpr_count:     11
    .sgpr_spill_count: 0
    .symbol:         _Z15init_rand_statejPj.kd
    .uniform_work_group_size: 1
    .uses_dynamic_stack: false
    .vgpr_count:     5
    .vgpr_spill_count: 0
    .wavefront_size: 64
  - .args:
      - .address_space:  global
        .offset:         0
        .size:           8
        .value_kind:     global_buffer
      - .offset:         8
        .size:           4
        .value_kind:     by_value
      - .actual_access:  write_only
        .address_space:  global
        .offset:         16
        .size:           8
        .value_kind:     global_buffer
      - .offset:         24
        .size:           8
        .value_kind:     by_value
      - .offset:         32
        .size:           8
        .value_kind:     by_value
      - .offset:         40
        .size:           4
        .value_kind:     by_value
      - .offset:         48
        .size:           4
        .value_kind:     hidden_block_count_x
      - .offset:         52
        .size:           4
        .value_kind:     hidden_block_count_y
      - .offset:         56
        .size:           4
        .value_kind:     hidden_block_count_z
      - .offset:         60
        .size:           2
        .value_kind:     hidden_group_size_x
      - .offset:         62
        .size:           2
        .value_kind:     hidden_group_size_y
      - .offset:         64
        .size:           2
        .value_kind:     hidden_group_size_z
      - .offset:         66
        .size:           2
        .value_kind:     hidden_remainder_x
      - .offset:         68
        .size:           2
        .value_kind:     hidden_remainder_y
      - .offset:         70
        .size:           2
        .value_kind:     hidden_remainder_z
      - .offset:         88
        .size:           8
        .value_kind:     hidden_global_offset_x
      - .offset:         96
        .size:           8
        .value_kind:     hidden_global_offset_y
      - .offset:         104
        .size:           8
        .value_kind:     hidden_global_offset_z
      - .offset:         112
        .size:           2
        .value_kind:     hidden_grid_dims
    .group_segment_fixed_size: 0
    .kernarg_segment_align: 8
    .kernarg_segment_size: 304
    .language:       OpenCL C
    .language_version:
      - 2
      - 0
    .max_flat_workgroup_size: 1024
    .name:           _Z11random_initPjiP6__halfxxf
    .private_segment_fixed_size: 0
    .sgpr_count:     21
    .sgpr_spill_count: 0
    .symbol:         _Z11random_initPjiP6__halfxxf.kd
    .uniform_work_group_size: 1
    .uses_dynamic_stack: false
    .vgpr_count:     9
    .vgpr_spill_count: 0
    .wavefront_size: 64
  - .args:
      - .actual_access:  read_only
        .address_space:  global
        .offset:         0
        .size:           8
        .value_kind:     global_buffer
      - .offset:         8
        .size:           8
        .value_kind:     by_value
      - .address_space:  global
        .offset:         16
        .size:           8
        .value_kind:     global_buffer
      - .address_space:  global
        .offset:         24
        .size:           8
        .value_kind:     global_buffer
      - .address_space:  global
        .offset:         32
        .size:           8
        .value_kind:     global_buffer
      - .actual_access:  read_only
        .address_space:  global
        .offset:         40
        .size:           8
        .value_kind:     global_buffer
      - .offset:         48
        .size:           8
        .value_kind:     by_value
      - .offset:         56
        .size:           8
        .value_kind:     by_value
      - .offset:         64
        .size:           4
        .value_kind:     by_value
      - .offset:         68
        .size:           4
        .value_kind:     by_value
      - .offset:         72
        .size:           4
        .value_kind:     by_value
      - .offset:         76
        .size:           4
        .value_kind:     by_value
      - .offset:         80
        .size:           4
        .value_kind:     by_value
      - .offset:         84
        .size:           4
        .value_kind:     by_value
      - .offset:         88
        .size:           4
        .value_kind:     by_value
      - .offset:         92
        .size:           4
        .value_kind:     by_value
      - .offset:         96
        .size:           4
        .value_kind:     by_value
      - .offset:         100
        .size:           4
        .value_kind:     by_value
      - .offset:         104
        .size:           4
        .value_kind:     by_value
      - .offset:         108
        .size:           4
        .value_kind:     by_value
    .group_segment_fixed_size: 0
    .kernarg_segment_align: 8
    .kernarg_segment_size: 112
    .language:       OpenCL C
    .language_version:
      - 2
      - 0
    .max_flat_workgroup_size: 1024
    .name:           _Z36sgd_k128_kernel_hogwild_warp32_lratePK7mf_nodexP6__halfS3_PjPKfxxiiiiiiffiiii
    .private_segment_fixed_size: 0
    .sgpr_count:     50
    .sgpr_spill_count: 0
    .symbol:         _Z36sgd_k128_kernel_hogwild_warp32_lratePK7mf_nodexP6__halfS3_PjPKfxxiiiiiiffiiii.kd
    .uniform_work_group_size: 1
    .uses_dynamic_stack: false
    .vgpr_count:     38
    .vgpr_spill_count: 0
    .wavefront_size: 64
  - .args:
      - .offset:         0
        .size:           4
        .value_kind:     by_value
      - .address_space:  global
        .offset:         8
        .size:           8
        .value_kind:     global_buffer
      - .offset:         16
        .size:           4
        .value_kind:     by_value
      - .offset:         24
        .size:           4
        .value_kind:     hidden_block_count_x
      - .offset:         28
        .size:           4
        .value_kind:     hidden_block_count_y
      - .offset:         32
        .size:           4
        .value_kind:     hidden_block_count_z
      - .offset:         36
        .size:           2
        .value_kind:     hidden_group_size_x
      - .offset:         38
        .size:           2
        .value_kind:     hidden_group_size_y
      - .offset:         40
        .size:           2
        .value_kind:     hidden_group_size_z
      - .offset:         42
        .size:           2
        .value_kind:     hidden_remainder_x
      - .offset:         44
        .size:           2
        .value_kind:     hidden_remainder_y
      - .offset:         46
        .size:           2
        .value_kind:     hidden_remainder_z
      - .offset:         64
        .size:           8
        .value_kind:     hidden_global_offset_x
      - .offset:         72
        .size:           8
        .value_kind:     hidden_global_offset_y
      - .offset:         80
        .size:           8
        .value_kind:     hidden_global_offset_z
      - .offset:         88
        .size:           2
        .value_kind:     hidden_grid_dims
    .group_segment_fixed_size: 0
    .kernarg_segment_align: 8
    .kernarg_segment_size: 280
    .language:       OpenCL C
    .language_version:
      - 2
      - 0
    .max_flat_workgroup_size: 1024
    .name:           _Z15init_rand_statejPji
    .private_segment_fixed_size: 0
    .sgpr_count:     11
    .sgpr_spill_count: 0
    .symbol:         _Z15init_rand_statejPji.kd
    .uniform_work_group_size: 1
    .uses_dynamic_stack: false
    .vgpr_count:     4
    .vgpr_spill_count: 0
    .wavefront_size: 64
  - .args:
      - .actual_access:  read_only
        .address_space:  global
        .offset:         0
        .size:           8
        .value_kind:     global_buffer
      - .actual_access:  write_only
        .address_space:  global
        .offset:         8
        .size:           8
        .value_kind:     global_buffer
      - .offset:         16
        .size:           8
        .value_kind:     by_value
      - .offset:         24
        .size:           4
        .value_kind:     hidden_block_count_x
      - .offset:         28
        .size:           4
        .value_kind:     hidden_block_count_y
      - .offset:         32
        .size:           4
        .value_kind:     hidden_block_count_z
      - .offset:         36
        .size:           2
        .value_kind:     hidden_group_size_x
      - .offset:         38
        .size:           2
        .value_kind:     hidden_group_size_y
      - .offset:         40
        .size:           2
        .value_kind:     hidden_group_size_z
      - .offset:         42
        .size:           2
        .value_kind:     hidden_remainder_x
      - .offset:         44
        .size:           2
        .value_kind:     hidden_remainder_y
      - .offset:         46
        .size:           2
        .value_kind:     hidden_remainder_z
      - .offset:         64
        .size:           8
        .value_kind:     hidden_global_offset_x
      - .offset:         72
        .size:           8
        .value_kind:     hidden_global_offset_y
      - .offset:         80
        .size:           8
        .value_kind:     hidden_global_offset_z
      - .offset:         88
        .size:           2
        .value_kind:     hidden_grid_dims
    .group_segment_fixed_size: 0
    .kernarg_segment_align: 8
    .kernarg_segment_size: 280
    .language:       OpenCL C
    .language_version:
      - 2
      - 0
    .max_flat_workgroup_size: 1024
    .name:           _Z14transform_halfPK6__halfPfx
    .private_segment_fixed_size: 0
    .sgpr_count:     16
    .sgpr_spill_count: 0
    .symbol:         _Z14transform_halfPK6__halfPfx.kd
    .uniform_work_group_size: 1
    .uses_dynamic_stack: false
    .vgpr_count:     10
    .vgpr_spill_count: 0
    .wavefront_size: 64
amdhsa.target:   amdgcn-amd-amdhsa--gfx906
amdhsa.version:
  - 1
  - 2
...

	.end_amdgpu_metadata
